;; amdgpu-corpus repo=ROCm/rocFFT kind=compiled arch=gfx1201 opt=O3
	.text
	.amdgcn_target "amdgcn-amd-amdhsa--gfx1201"
	.amdhsa_code_object_version 6
	.protected	fft_rtc_back_len22_factors_11_2_wgs_64_tpt_2_halfLds_sp_ip_CI_unitstride_sbrr_C2R_dirReg ; -- Begin function fft_rtc_back_len22_factors_11_2_wgs_64_tpt_2_halfLds_sp_ip_CI_unitstride_sbrr_C2R_dirReg
	.globl	fft_rtc_back_len22_factors_11_2_wgs_64_tpt_2_halfLds_sp_ip_CI_unitstride_sbrr_C2R_dirReg
	.p2align	8
	.type	fft_rtc_back_len22_factors_11_2_wgs_64_tpt_2_halfLds_sp_ip_CI_unitstride_sbrr_C2R_dirReg,@function
fft_rtc_back_len22_factors_11_2_wgs_64_tpt_2_halfLds_sp_ip_CI_unitstride_sbrr_C2R_dirReg: ; @fft_rtc_back_len22_factors_11_2_wgs_64_tpt_2_halfLds_sp_ip_CI_unitstride_sbrr_C2R_dirReg
; %bb.0:
	s_clause 0x2
	s_load_b128 s[4:7], s[0:1], 0x0
	s_load_b64 s[8:9], s[0:1], 0x50
	s_load_b64 s[10:11], s[0:1], 0x18
	v_lshrrev_b32_e32 v9, 1, v0
	v_mov_b32_e32 v3, 0
	v_mov_b32_e32 v1, 0
	;; [unrolled: 1-line block ×3, first 2 shown]
	s_delay_alu instid0(VALU_DEP_4) | instskip(NEXT) | instid1(VALU_DEP_4)
	v_lshl_or_b32 v5, ttmp9, 5, v9
	v_mov_b32_e32 v6, v3
	s_wait_kmcnt 0x0
	v_cmp_lt_u64_e64 s2, s[6:7], 2
	s_delay_alu instid0(VALU_DEP_1)
	s_and_b32 vcc_lo, exec_lo, s2
	s_cbranch_vccnz .LBB0_8
; %bb.1:
	s_load_b64 s[2:3], s[0:1], 0x10
	v_mov_b32_e32 v1, 0
	v_mov_b32_e32 v2, 0
	s_add_nc_u64 s[12:13], s[10:11], 8
	s_mov_b64 s[14:15], 1
	s_wait_kmcnt 0x0
	s_add_nc_u64 s[16:17], s[2:3], 8
	s_mov_b32 s3, 0
.LBB0_2:                                ; =>This Inner Loop Header: Depth=1
	s_load_b64 s[18:19], s[16:17], 0x0
                                        ; implicit-def: $vgpr7_vgpr8
	s_mov_b32 s2, exec_lo
	s_wait_kmcnt 0x0
	v_or_b32_e32 v4, s19, v6
	s_delay_alu instid0(VALU_DEP_1)
	v_cmpx_ne_u64_e32 0, v[3:4]
	s_wait_alu 0xfffe
	s_xor_b32 s20, exec_lo, s2
	s_cbranch_execz .LBB0_4
; %bb.3:                                ;   in Loop: Header=BB0_2 Depth=1
	s_cvt_f32_u32 s2, s18
	s_cvt_f32_u32 s21, s19
	s_sub_nc_u64 s[24:25], 0, s[18:19]
	s_wait_alu 0xfffe
	s_delay_alu instid0(SALU_CYCLE_1) | instskip(SKIP_1) | instid1(SALU_CYCLE_2)
	s_fmamk_f32 s2, s21, 0x4f800000, s2
	s_wait_alu 0xfffe
	v_s_rcp_f32 s2, s2
	s_delay_alu instid0(TRANS32_DEP_1) | instskip(SKIP_1) | instid1(SALU_CYCLE_2)
	s_mul_f32 s2, s2, 0x5f7ffffc
	s_wait_alu 0xfffe
	s_mul_f32 s21, s2, 0x2f800000
	s_wait_alu 0xfffe
	s_delay_alu instid0(SALU_CYCLE_2) | instskip(SKIP_1) | instid1(SALU_CYCLE_2)
	s_trunc_f32 s21, s21
	s_wait_alu 0xfffe
	s_fmamk_f32 s2, s21, 0xcf800000, s2
	s_cvt_u32_f32 s23, s21
	s_wait_alu 0xfffe
	s_delay_alu instid0(SALU_CYCLE_1) | instskip(SKIP_1) | instid1(SALU_CYCLE_2)
	s_cvt_u32_f32 s22, s2
	s_wait_alu 0xfffe
	s_mul_u64 s[26:27], s[24:25], s[22:23]
	s_wait_alu 0xfffe
	s_mul_hi_u32 s29, s22, s27
	s_mul_i32 s28, s22, s27
	s_mul_hi_u32 s2, s22, s26
	s_mul_i32 s30, s23, s26
	s_wait_alu 0xfffe
	s_add_nc_u64 s[28:29], s[2:3], s[28:29]
	s_mul_hi_u32 s21, s23, s26
	s_mul_hi_u32 s31, s23, s27
	s_add_co_u32 s2, s28, s30
	s_wait_alu 0xfffe
	s_add_co_ci_u32 s2, s29, s21
	s_mul_i32 s26, s23, s27
	s_add_co_ci_u32 s27, s31, 0
	s_wait_alu 0xfffe
	s_add_nc_u64 s[26:27], s[2:3], s[26:27]
	s_wait_alu 0xfffe
	v_add_co_u32 v4, s2, s22, s26
	s_delay_alu instid0(VALU_DEP_1) | instskip(SKIP_1) | instid1(VALU_DEP_1)
	s_cmp_lg_u32 s2, 0
	s_add_co_ci_u32 s23, s23, s27
	v_readfirstlane_b32 s22, v4
	s_wait_alu 0xfffe
	s_delay_alu instid0(VALU_DEP_1)
	s_mul_u64 s[24:25], s[24:25], s[22:23]
	s_wait_alu 0xfffe
	s_mul_hi_u32 s27, s22, s25
	s_mul_i32 s26, s22, s25
	s_mul_hi_u32 s2, s22, s24
	s_mul_i32 s28, s23, s24
	s_wait_alu 0xfffe
	s_add_nc_u64 s[26:27], s[2:3], s[26:27]
	s_mul_hi_u32 s21, s23, s24
	s_mul_hi_u32 s22, s23, s25
	s_wait_alu 0xfffe
	s_add_co_u32 s2, s26, s28
	s_add_co_ci_u32 s2, s27, s21
	s_mul_i32 s24, s23, s25
	s_add_co_ci_u32 s25, s22, 0
	s_wait_alu 0xfffe
	s_add_nc_u64 s[24:25], s[2:3], s[24:25]
	s_wait_alu 0xfffe
	v_add_co_u32 v4, s2, v4, s24
	s_delay_alu instid0(VALU_DEP_1) | instskip(SKIP_1) | instid1(VALU_DEP_1)
	s_cmp_lg_u32 s2, 0
	s_add_co_ci_u32 s2, s23, s25
	v_mul_hi_u32 v14, v5, v4
	s_wait_alu 0xfffe
	v_mad_co_u64_u32 v[7:8], null, v5, s2, 0
	v_mad_co_u64_u32 v[10:11], null, v6, v4, 0
	;; [unrolled: 1-line block ×3, first 2 shown]
	s_delay_alu instid0(VALU_DEP_3) | instskip(SKIP_1) | instid1(VALU_DEP_4)
	v_add_co_u32 v4, vcc_lo, v14, v7
	s_wait_alu 0xfffd
	v_add_co_ci_u32_e32 v7, vcc_lo, 0, v8, vcc_lo
	s_delay_alu instid0(VALU_DEP_2) | instskip(SKIP_1) | instid1(VALU_DEP_2)
	v_add_co_u32 v4, vcc_lo, v4, v10
	s_wait_alu 0xfffd
	v_add_co_ci_u32_e32 v4, vcc_lo, v7, v11, vcc_lo
	s_wait_alu 0xfffd
	v_add_co_ci_u32_e32 v7, vcc_lo, 0, v13, vcc_lo
	s_delay_alu instid0(VALU_DEP_2) | instskip(SKIP_1) | instid1(VALU_DEP_2)
	v_add_co_u32 v4, vcc_lo, v4, v12
	s_wait_alu 0xfffd
	v_add_co_ci_u32_e32 v10, vcc_lo, 0, v7, vcc_lo
	s_delay_alu instid0(VALU_DEP_2) | instskip(SKIP_1) | instid1(VALU_DEP_3)
	v_mul_lo_u32 v11, s19, v4
	v_mad_co_u64_u32 v[7:8], null, s18, v4, 0
	v_mul_lo_u32 v12, s18, v10
	s_delay_alu instid0(VALU_DEP_2) | instskip(NEXT) | instid1(VALU_DEP_2)
	v_sub_co_u32 v7, vcc_lo, v5, v7
	v_add3_u32 v8, v8, v12, v11
	s_delay_alu instid0(VALU_DEP_1) | instskip(SKIP_1) | instid1(VALU_DEP_1)
	v_sub_nc_u32_e32 v11, v6, v8
	s_wait_alu 0xfffd
	v_subrev_co_ci_u32_e64 v11, s2, s19, v11, vcc_lo
	v_add_co_u32 v12, s2, v4, 2
	s_wait_alu 0xf1ff
	v_add_co_ci_u32_e64 v13, s2, 0, v10, s2
	v_sub_co_u32 v14, s2, v7, s18
	v_sub_co_ci_u32_e32 v8, vcc_lo, v6, v8, vcc_lo
	s_wait_alu 0xf1ff
	v_subrev_co_ci_u32_e64 v11, s2, 0, v11, s2
	s_delay_alu instid0(VALU_DEP_3) | instskip(NEXT) | instid1(VALU_DEP_3)
	v_cmp_le_u32_e32 vcc_lo, s18, v14
	v_cmp_eq_u32_e64 s2, s19, v8
	s_wait_alu 0xfffd
	v_cndmask_b32_e64 v14, 0, -1, vcc_lo
	v_cmp_le_u32_e32 vcc_lo, s19, v11
	s_wait_alu 0xfffd
	v_cndmask_b32_e64 v15, 0, -1, vcc_lo
	v_cmp_le_u32_e32 vcc_lo, s18, v7
	;; [unrolled: 3-line block ×3, first 2 shown]
	s_wait_alu 0xfffd
	v_cndmask_b32_e64 v16, 0, -1, vcc_lo
	v_cmp_eq_u32_e32 vcc_lo, s19, v11
	s_wait_alu 0xf1ff
	s_delay_alu instid0(VALU_DEP_2)
	v_cndmask_b32_e64 v7, v16, v7, s2
	s_wait_alu 0xfffd
	v_cndmask_b32_e32 v11, v15, v14, vcc_lo
	v_add_co_u32 v14, vcc_lo, v4, 1
	s_wait_alu 0xfffd
	v_add_co_ci_u32_e32 v15, vcc_lo, 0, v10, vcc_lo
	s_delay_alu instid0(VALU_DEP_3) | instskip(SKIP_1) | instid1(VALU_DEP_2)
	v_cmp_ne_u32_e32 vcc_lo, 0, v11
	s_wait_alu 0xfffd
	v_dual_cndmask_b32 v8, v15, v13 :: v_dual_cndmask_b32 v11, v14, v12
	v_cmp_ne_u32_e32 vcc_lo, 0, v7
	s_wait_alu 0xfffd
	s_delay_alu instid0(VALU_DEP_2)
	v_dual_cndmask_b32 v8, v10, v8 :: v_dual_cndmask_b32 v7, v4, v11
.LBB0_4:                                ;   in Loop: Header=BB0_2 Depth=1
	s_wait_alu 0xfffe
	s_and_not1_saveexec_b32 s2, s20
	s_cbranch_execz .LBB0_6
; %bb.5:                                ;   in Loop: Header=BB0_2 Depth=1
	v_cvt_f32_u32_e32 v4, s18
	s_sub_co_i32 s20, 0, s18
	s_delay_alu instid0(VALU_DEP_1) | instskip(NEXT) | instid1(TRANS32_DEP_1)
	v_rcp_iflag_f32_e32 v4, v4
	v_mul_f32_e32 v4, 0x4f7ffffe, v4
	s_delay_alu instid0(VALU_DEP_1) | instskip(SKIP_1) | instid1(VALU_DEP_1)
	v_cvt_u32_f32_e32 v4, v4
	s_wait_alu 0xfffe
	v_mul_lo_u32 v7, s20, v4
	s_delay_alu instid0(VALU_DEP_1) | instskip(NEXT) | instid1(VALU_DEP_1)
	v_mul_hi_u32 v7, v4, v7
	v_add_nc_u32_e32 v4, v4, v7
	s_delay_alu instid0(VALU_DEP_1) | instskip(NEXT) | instid1(VALU_DEP_1)
	v_mul_hi_u32 v4, v5, v4
	v_mul_lo_u32 v7, v4, s18
	v_add_nc_u32_e32 v8, 1, v4
	s_delay_alu instid0(VALU_DEP_2) | instskip(NEXT) | instid1(VALU_DEP_1)
	v_sub_nc_u32_e32 v7, v5, v7
	v_subrev_nc_u32_e32 v10, s18, v7
	v_cmp_le_u32_e32 vcc_lo, s18, v7
	s_wait_alu 0xfffd
	s_delay_alu instid0(VALU_DEP_2) | instskip(NEXT) | instid1(VALU_DEP_1)
	v_dual_cndmask_b32 v7, v7, v10 :: v_dual_cndmask_b32 v4, v4, v8
	v_cmp_le_u32_e32 vcc_lo, s18, v7
	s_delay_alu instid0(VALU_DEP_2) | instskip(SKIP_1) | instid1(VALU_DEP_1)
	v_add_nc_u32_e32 v8, 1, v4
	s_wait_alu 0xfffd
	v_dual_cndmask_b32 v7, v4, v8 :: v_dual_mov_b32 v8, v3
.LBB0_6:                                ;   in Loop: Header=BB0_2 Depth=1
	s_wait_alu 0xfffe
	s_or_b32 exec_lo, exec_lo, s2
	s_load_b64 s[20:21], s[12:13], 0x0
	s_delay_alu instid0(VALU_DEP_1)
	v_mul_lo_u32 v4, v8, s18
	v_mul_lo_u32 v12, v7, s19
	v_mad_co_u64_u32 v[10:11], null, v7, s18, 0
	s_add_nc_u64 s[14:15], s[14:15], 1
	s_add_nc_u64 s[12:13], s[12:13], 8
	s_wait_alu 0xfffe
	v_cmp_ge_u64_e64 s2, s[14:15], s[6:7]
	s_add_nc_u64 s[16:17], s[16:17], 8
	s_delay_alu instid0(VALU_DEP_2) | instskip(NEXT) | instid1(VALU_DEP_3)
	v_add3_u32 v4, v11, v12, v4
	v_sub_co_u32 v5, vcc_lo, v5, v10
	s_wait_alu 0xfffd
	s_delay_alu instid0(VALU_DEP_2) | instskip(SKIP_3) | instid1(VALU_DEP_2)
	v_sub_co_ci_u32_e32 v4, vcc_lo, v6, v4, vcc_lo
	s_and_b32 vcc_lo, exec_lo, s2
	s_wait_kmcnt 0x0
	v_mul_lo_u32 v6, s21, v5
	v_mul_lo_u32 v4, s20, v4
	v_mad_co_u64_u32 v[1:2], null, s20, v5, v[1:2]
	s_delay_alu instid0(VALU_DEP_1)
	v_add3_u32 v2, v6, v2, v4
	s_wait_alu 0xfffe
	s_cbranch_vccnz .LBB0_9
; %bb.7:                                ;   in Loop: Header=BB0_2 Depth=1
	v_dual_mov_b32 v5, v7 :: v_dual_mov_b32 v6, v8
	s_branch .LBB0_2
.LBB0_8:
	v_dual_mov_b32 v8, v6 :: v_dual_mov_b32 v7, v5
.LBB0_9:
	s_lshl_b64 s[2:3], s[6:7], 3
	s_wait_alu 0xfffe
	s_add_nc_u64 s[2:3], s[10:11], s[2:3]
	s_load_b64 s[2:3], s[2:3], 0x0
	s_load_b64 s[0:1], s[0:1], 0x20
	s_wait_kmcnt 0x0
	v_mul_lo_u32 v5, s2, v8
	v_mul_lo_u32 v6, s3, v7
	v_mad_co_u64_u32 v[3:4], null, s2, v7, v[1:2]
	v_and_b32_e32 v2, 1, v0
	v_cmp_gt_u64_e32 vcc_lo, s[0:1], v[7:8]
	s_delay_alu instid0(VALU_DEP_2) | instskip(NEXT) | instid1(VALU_DEP_4)
	v_mov_b32_e32 v31, v2
	v_add3_u32 v4, v6, v4, v5
	v_mul_u32_u24_e32 v5, 23, v9
	v_mov_b32_e32 v20, 0
	s_delay_alu instid0(VALU_DEP_3) | instskip(NEXT) | instid1(VALU_DEP_3)
	v_lshlrev_b64_e32 v[22:23], 3, v[3:4]
	v_lshlrev_b32_e32 v21, 3, v5
	s_and_saveexec_b32 s1, vcc_lo
	s_cbranch_execz .LBB0_13
; %bb.10:
	v_lshlrev_b32_e32 v3, 3, v2
	s_delay_alu instid0(VALU_DEP_3) | instskip(SKIP_2) | instid1(VALU_DEP_3)
	v_add_co_u32 v0, s0, s8, v22
	s_wait_alu 0xf1ff
	v_add_co_ci_u32_e64 v1, s0, s9, v23, s0
	v_add3_u32 v6, 0, v21, v3
	s_delay_alu instid0(VALU_DEP_3) | instskip(SKIP_1) | instid1(VALU_DEP_3)
	v_add_co_u32 v0, s0, v0, v3
	s_wait_alu 0xf1ff
	v_add_co_ci_u32_e64 v1, s0, 0, v1, s0
	v_mov_b32_e32 v3, 0
	v_mov_b32_e32 v4, 0
	s_clause 0xa
	global_load_b64 v[7:8], v[0:1], off
	global_load_b64 v[9:10], v[0:1], off offset:16
	global_load_b64 v[11:12], v[0:1], off offset:32
	;; [unrolled: 1-line block ×10, first 2 shown]
	s_mov_b32 s2, exec_lo
	s_wait_loadcnt 0x9
	ds_store_2addr_b64 v6, v[7:8], v[9:10] offset1:2
	s_wait_loadcnt 0x7
	ds_store_2addr_b64 v6, v[11:12], v[13:14] offset0:4 offset1:6
	s_wait_loadcnt 0x5
	ds_store_2addr_b64 v6, v[15:16], v[17:18] offset0:8 offset1:10
	;; [unrolled: 2-line block ×4, first 2 shown]
	s_wait_loadcnt 0x0
	ds_store_b64 v6, v[32:33] offset:160
	v_cmpx_ne_u32_e32 0, v2
	s_cbranch_execz .LBB0_12
; %bb.11:
	global_load_b64 v[0:1], v[0:1], off offset:168
	v_mov_b32_e32 v4, v3
	v_dual_mov_b32 v20, 1 :: v_dual_mov_b32 v3, v2
	s_wait_loadcnt 0x0
	ds_store_b64 v6, v[0:1] offset:168
.LBB0_12:
	s_wait_alu 0xfffe
	s_or_b32 exec_lo, exec_lo, s2
	v_dual_mov_b32 v2, v3 :: v_dual_mov_b32 v31, v20
	v_mov_b32_e32 v3, v4
.LBB0_13:
	s_wait_alu 0xfffe
	s_or_b32 exec_lo, exec_lo, s1
	v_lshl_add_u32 v30, v5, 3, 0
	v_lshlrev_b32_e32 v32, 3, v31
	global_wb scope:SCOPE_SE
	s_wait_dscnt 0x0
	s_barrier_signal -1
	s_barrier_wait -1
	global_inv scope:SCOPE_SE
	v_add_nc_u32_e32 v3, v30, v32
	v_sub_nc_u32_e32 v4, v30, v32
	v_cmp_eq_u32_e64 s0, 0, v31
	v_cmp_ne_u32_e64 s1, 0, v31
	ds_load_b32 v5, v3
	ds_load_b32 v6, v4 offset:176
	v_lshlrev_b32_e32 v33, 3, v2
	s_wait_dscnt 0x0
	v_dual_sub_f32 v1, v5, v6 :: v_dual_add_f32 v0, v6, v5
	s_and_saveexec_b32 s2, s1
	s_wait_alu 0xfffe
	s_xor_b32 s1, exec_lo, s2
	s_cbranch_execz .LBB0_15
; %bb.14:
	global_load_b64 v[7:8], v33, s[4:5] offset:88
	ds_load_b32 v0, v4 offset:180
	ds_load_b32 v1, v3 offset:4
	v_dual_add_f32 v2, v6, v5 :: v_dual_sub_f32 v9, v5, v6
	s_wait_dscnt 0x0
	v_add_f32_e32 v10, v0, v1
	s_wait_loadcnt 0x0
	s_delay_alu instid0(VALU_DEP_2) | instskip(SKIP_2) | instid1(VALU_DEP_2)
	v_fma_f32 v5, -v9, v8, v2
	v_sub_f32_e32 v0, v1, v0
	v_fma_f32 v11, v9, v8, v2
	v_fma_f32 v1, v10, v8, v0
	s_delay_alu instid0(VALU_DEP_1) | instskip(SKIP_3) | instid1(VALU_DEP_2)
	v_fmac_f32_e32 v1, v9, v7
	v_fmac_f32_e32 v5, v7, v10
	v_fma_f32 v6, v10, v8, -v0
	v_fma_f32 v0, -v7, v10, v11
	v_fmac_f32_e32 v6, v9, v7
	ds_store_b64 v4, v[5:6] offset:176
.LBB0_15:
	s_wait_alu 0xfffe
	s_and_not1_saveexec_b32 s1, s1
	s_cbranch_execz .LBB0_17
; %bb.16:
	ds_load_b64 v[5:6], v30 offset:88
	s_wait_dscnt 0x0
	v_dual_add_f32 v5, v5, v5 :: v_dual_mul_f32 v6, -2.0, v6
	ds_store_b64 v30, v[5:6] offset:88
.LBB0_17:
	s_wait_alu 0xfffe
	s_or_b32 exec_lo, exec_lo, s1
	s_add_nc_u64 s[2:3], s[4:5], 0x58
	s_clause 0x3
	global_load_b64 v[5:6], v32, s[2:3] offset:16
	global_load_b64 v[7:8], v32, s[2:3] offset:32
	;; [unrolled: 1-line block ×4, first 2 shown]
	ds_store_b64 v3, v[0:1]
	ds_load_b64 v[0:1], v3 offset:16
	ds_load_b64 v[13:14], v4 offset:160
	s_wait_dscnt 0x0
	v_add_f32_e32 v15, v14, v1
	v_add_f32_e32 v2, v0, v13
	v_sub_f32_e32 v16, v0, v13
	v_sub_f32_e32 v0, v1, v14
	s_wait_loadcnt 0x3
	s_delay_alu instid0(VALU_DEP_2) | instskip(NEXT) | instid1(VALU_DEP_2)
	v_fma_f32 v13, -v16, v6, v2
	v_fma_f32 v1, v15, v6, v0
	v_fma_f32 v14, v15, v6, -v0
	s_delay_alu instid0(VALU_DEP_3) | instskip(SKIP_1) | instid1(VALU_DEP_4)
	v_fmac_f32_e32 v13, v5, v15
	v_fma_f32 v17, v16, v6, v2
	v_fmac_f32_e32 v1, v16, v5
	s_delay_alu instid0(VALU_DEP_4) | instskip(NEXT) | instid1(VALU_DEP_3)
	v_fmac_f32_e32 v14, v16, v5
	v_fma_f32 v0, -v5, v15, v17
	ds_store_b64 v3, v[0:1] offset:16
	ds_store_b64 v4, v[13:14] offset:160
	ds_load_b64 v[0:1], v3 offset:32
	ds_load_b64 v[5:6], v4 offset:144
	s_wait_dscnt 0x0
	v_add_f32_e32 v2, v0, v5
	v_add_f32_e32 v13, v6, v1
	v_sub_f32_e32 v14, v0, v5
	v_sub_f32_e32 v0, v1, v6
	s_wait_loadcnt 0x2
	s_delay_alu instid0(VALU_DEP_2) | instskip(NEXT) | instid1(VALU_DEP_2)
	v_fma_f32 v15, v14, v8, v2
	v_fma_f32 v1, v13, v8, v0
	v_fma_f32 v5, -v14, v8, v2
	v_fma_f32 v6, v13, v8, -v0
	s_delay_alu instid0(VALU_DEP_4) | instskip(NEXT) | instid1(VALU_DEP_4)
	v_fma_f32 v0, -v7, v13, v15
	v_fmac_f32_e32 v1, v14, v7
	s_delay_alu instid0(VALU_DEP_3)
	v_dual_fmac_f32 v5, v7, v13 :: v_dual_fmac_f32 v6, v14, v7
	ds_store_b64 v3, v[0:1] offset:32
	ds_store_b64 v4, v[5:6] offset:144
	ds_load_b64 v[0:1], v3 offset:48
	ds_load_b64 v[5:6], v4 offset:128
	s_wait_dscnt 0x0
	v_add_f32_e32 v2, v0, v5
	v_add_f32_e32 v7, v6, v1
	v_sub_f32_e32 v8, v0, v5
	v_sub_f32_e32 v0, v1, v6
	s_wait_loadcnt 0x1
	s_delay_alu instid0(VALU_DEP_2) | instskip(NEXT) | instid1(VALU_DEP_2)
	v_fma_f32 v13, v8, v10, v2
	v_fma_f32 v1, v7, v10, v0
	v_fma_f32 v5, -v8, v10, v2
	v_fma_f32 v6, v7, v10, -v0
	s_delay_alu instid0(VALU_DEP_4) | instskip(NEXT) | instid1(VALU_DEP_4)
	v_fma_f32 v0, -v9, v7, v13
	v_fmac_f32_e32 v1, v8, v9
	s_delay_alu instid0(VALU_DEP_3)
	v_dual_fmac_f32 v5, v9, v7 :: v_dual_fmac_f32 v6, v8, v9
	ds_store_b64 v3, v[0:1] offset:48
	ds_store_b64 v4, v[5:6] offset:128
	ds_load_b64 v[0:1], v3 offset:64
	ds_load_b64 v[5:6], v4 offset:112
	s_wait_dscnt 0x0
	v_add_f32_e32 v2, v0, v5
	v_sub_f32_e32 v8, v0, v5
	v_dual_sub_f32 v0, v1, v6 :: v_dual_add_f32 v7, v6, v1
	s_wait_loadcnt 0x0
	s_delay_alu instid0(VALU_DEP_2) | instskip(SKIP_1) | instid1(VALU_DEP_3)
	v_fma_f32 v9, v8, v12, v2
	v_fma_f32 v5, -v8, v12, v2
	v_fma_f32 v6, v7, v12, -v0
	s_delay_alu instid0(VALU_DEP_1) | instskip(SKIP_3) | instid1(VALU_DEP_3)
	v_fmac_f32_e32 v6, v8, v11
	v_fma_f32 v1, v7, v12, v0
	v_fma_f32 v0, -v11, v7, v9
	v_fmac_f32_e32 v5, v11, v7
	v_fmac_f32_e32 v1, v8, v11
	ds_store_b64 v3, v[0:1] offset:64
	ds_store_b64 v4, v[5:6] offset:112
	s_and_saveexec_b32 s1, s0
	s_cbranch_execz .LBB0_19
; %bb.18:
	ds_load_2addr_b64 v[4:7], v30 offset0:10 offset1:12
	s_load_b64 s[2:3], s[4:5], 0xa8
	s_wait_dscnt 0x0
	v_add_f32_e32 v0, v4, v6
	v_sub_f32_e32 v6, v4, v6
	v_dual_add_f32 v2, v7, v5 :: v_dual_sub_f32 v5, v5, v7
	s_wait_kmcnt 0x0
	s_delay_alu instid0(VALU_DEP_2) | instskip(SKIP_1) | instid1(VALU_DEP_3)
	v_fma_f32 v7, s3, v6, v0
	v_fma_f32 v4, -v6, s3, v0
	v_fma_f32 v1, s3, v2, v5
	s_delay_alu instid0(VALU_DEP_1) | instskip(SKIP_3) | instid1(VALU_DEP_3)
	v_fmac_f32_e32 v1, s2, v6
	v_fma_f32 v5, v2, s3, -v5
	v_fma_f32 v0, -s2, v2, v7
	v_fmac_f32_e32 v4, s2, v2
	v_fmac_f32_e32 v5, s2, v6
	ds_store_2addr_b64 v30, v[0:1], v[4:5] offset0:10 offset1:12
.LBB0_19:
	s_wait_alu 0xfffe
	s_or_b32 exec_lo, exec_lo, s1
	v_lshl_add_u32 v2, v31, 3, 0
	global_wb scope:SCOPE_SE
	s_wait_dscnt 0x0
	s_barrier_signal -1
	s_barrier_wait -1
	global_inv scope:SCOPE_SE
	v_add_nc_u32_e32 v34, v2, v21
	global_wb scope:SCOPE_SE
	s_barrier_signal -1
	s_barrier_wait -1
	global_inv scope:SCOPE_SE
	ds_load_b64 v[0:1], v3
	ds_load_2addr_b64 v[4:7], v34 offset0:2 offset1:4
	ds_load_2addr_b64 v[8:11], v34 offset0:18 offset1:20
	ds_load_2addr_b64 v[12:15], v34 offset0:6 offset1:8
	ds_load_2addr_b64 v[16:19], v34 offset0:10 offset1:12
	ds_load_2addr_b64 v[24:27], v34 offset0:14 offset1:16
	global_wb scope:SCOPE_SE
	s_wait_dscnt 0x0
	s_barrier_signal -1
	s_barrier_wait -1
	global_inv scope:SCOPE_SE
	v_dual_add_f32 v28, v0, v4 :: v_dual_add_f32 v29, v1, v5
	v_dual_add_f32 v35, v10, v4 :: v_dual_sub_f32 v36, v5, v11
	v_dual_add_f32 v37, v11, v5 :: v_dual_sub_f32 v38, v4, v10
	s_delay_alu instid0(VALU_DEP_3) | instskip(NEXT) | instid1(VALU_DEP_3)
	v_dual_add_f32 v4, v28, v6 :: v_dual_add_f32 v5, v29, v7
	v_mul_f32_e32 v28, 0xbf0a6770, v36
	s_delay_alu instid0(VALU_DEP_3)
	v_mul_f32_e32 v29, 0x3f575c64, v37
	v_mul_f32_e32 v40, 0x3ed4b147, v37
	;; [unrolled: 1-line block ×3, first 2 shown]
	v_dual_add_f32 v5, v5, v13 :: v_dual_add_f32 v4, v4, v12
	v_fmamk_f32 v45, v35, 0x3f575c64, v28
	v_mul_f32_e32 v41, 0xbf7d64f0, v36
	s_delay_alu instid0(VALU_DEP_3) | instskip(NEXT) | instid1(VALU_DEP_4)
	v_dual_mul_f32 v44, 0xbf27a4f4, v37 :: v_dual_add_f32 v5, v5, v15
	v_add_f32_e32 v4, v4, v14
	s_delay_alu instid0(VALU_DEP_4) | instskip(SKIP_1) | instid1(VALU_DEP_3)
	v_dual_fmamk_f32 v46, v38, 0x3f0a6770, v29 :: v_dual_add_f32 v45, v0, v45
	v_fmac_f32_e32 v29, 0xbf0a6770, v38
	v_dual_add_f32 v5, v5, v17 :: v_dual_add_f32 v4, v4, v16
	v_mul_f32_e32 v43, 0xbf4178ce, v36
	v_mul_f32_e32 v36, 0xbe903f40, v36
	v_dual_mul_f32 v42, 0xbe11bafb, v37 :: v_dual_fmamk_f32 v49, v35, 0xbe11bafb, v41
	s_delay_alu instid0(VALU_DEP_4) | instskip(SKIP_1) | instid1(VALU_DEP_3)
	v_dual_fmamk_f32 v48, v38, 0x3f68dda4, v40 :: v_dual_add_f32 v5, v5, v19
	v_fma_f32 v28, 0x3f575c64, v35, -v28
	v_dual_fmamk_f32 v50, v38, 0x3f7d64f0, v42 :: v_dual_add_f32 v29, v1, v29
	s_delay_alu instid0(VALU_DEP_3) | instskip(SKIP_1) | instid1(VALU_DEP_4)
	v_dual_fmac_f32 v42, 0xbf7d64f0, v38 :: v_dual_add_f32 v5, v5, v25
	v_add_f32_e32 v4, v4, v18
	v_add_f32_e32 v28, v0, v28
	v_fmac_f32_e32 v40, 0xbf68dda4, v38
	v_fmamk_f32 v47, v35, 0x3ed4b147, v39
	s_delay_alu instid0(VALU_DEP_4) | instskip(SKIP_2) | instid1(VALU_DEP_3)
	v_dual_add_f32 v5, v5, v27 :: v_dual_add_f32 v4, v4, v24
	v_fmamk_f32 v52, v38, 0x3f4178ce, v44
	v_dual_fmamk_f32 v51, v35, 0xbf27a4f4, v43 :: v_dual_add_f32 v46, v1, v46
	v_dual_add_f32 v5, v5, v9 :: v_dual_add_f32 v4, v4, v26
	v_add_f32_e32 v47, v0, v47
	v_fma_f32 v39, 0x3ed4b147, v35, -v39
	v_fma_f32 v41, 0xbe11bafb, v35, -v41
	s_delay_alu instid0(VALU_DEP_4) | instskip(SKIP_1) | instid1(VALU_DEP_4)
	v_dual_add_f32 v5, v5, v11 :: v_dual_add_f32 v4, v4, v8
	v_add_f32_e32 v11, v1, v52
	v_dual_add_f32 v48, v1, v48 :: v_dual_add_f32 v39, v0, v39
	v_dual_add_f32 v40, v1, v40 :: v_dual_add_f32 v49, v0, v49
	s_delay_alu instid0(VALU_DEP_4)
	v_add_f32_e32 v4, v4, v10
	v_fma_f32 v10, 0xbf27a4f4, v35, -v43
	v_mul_f32_e32 v37, 0xbf75a155, v37
	v_fmamk_f32 v43, v35, 0xbf75a155, v36
	v_fmac_f32_e32 v44, 0xbf4178ce, v38
	v_dual_add_f32 v50, v1, v50 :: v_dual_add_f32 v41, v0, v41
	v_add_f32_e32 v10, v0, v10
	v_dual_sub_f32 v52, v7, v9 :: v_dual_fmamk_f32 v53, v38, 0x3e903f40, v37
	v_dual_add_f32 v54, v8, v6 :: v_dual_add_f32 v7, v9, v7
	v_sub_f32_e32 v6, v6, v8
	s_delay_alu instid0(VALU_DEP_3) | instskip(SKIP_3) | instid1(VALU_DEP_4)
	v_mul_f32_e32 v55, 0xbf68dda4, v52
	v_dual_add_f32 v43, v0, v43 :: v_dual_add_f32 v44, v1, v44
	v_fmac_f32_e32 v37, 0xbe903f40, v38
	v_fma_f32 v9, 0xbf75a155, v35, -v36
	v_dual_fmamk_f32 v8, v54, 0x3ed4b147, v55 :: v_dual_mul_f32 v35, 0x3ed4b147, v7
	v_dual_add_f32 v42, v1, v42 :: v_dual_add_f32 v51, v0, v51
	v_add_f32_e32 v36, v1, v53
	s_delay_alu instid0(VALU_DEP_4)
	v_add_f32_e32 v0, v0, v9
	v_add_f32_e32 v1, v1, v37
	v_dual_add_f32 v8, v8, v45 :: v_dual_fmamk_f32 v9, v6, 0x3f68dda4, v35
	v_fmac_f32_e32 v35, 0xbf68dda4, v6
	v_mul_f32_e32 v37, 0xbf4178ce, v52
	v_fma_f32 v38, 0x3ed4b147, v54, -v55
	v_mul_f32_e32 v45, 0xbf27a4f4, v7
	v_add_f32_e32 v9, v9, v46
	v_mul_f32_e32 v53, 0xbe11bafb, v7
	v_fmamk_f32 v46, v54, 0xbf27a4f4, v37
	v_dual_add_f32 v28, v38, v28 :: v_dual_add_f32 v29, v35, v29
	v_fmamk_f32 v35, v6, 0x3f4178ce, v45
	v_mul_f32_e32 v38, 0x3e903f40, v52
	s_delay_alu instid0(VALU_DEP_4) | instskip(SKIP_1) | instid1(VALU_DEP_4)
	v_add_f32_e32 v46, v46, v47
	v_fma_f32 v37, 0xbf27a4f4, v54, -v37
	v_dual_add_f32 v35, v35, v48 :: v_dual_mul_f32 v48, 0xbf75a155, v7
	s_delay_alu instid0(VALU_DEP_4) | instskip(SKIP_3) | instid1(VALU_DEP_3)
	v_fmamk_f32 v47, v54, 0xbf75a155, v38
	v_fma_f32 v38, 0xbf75a155, v54, -v38
	v_fmac_f32_e32 v45, 0xbf4178ce, v6
	v_add_f32_e32 v37, v37, v39
	v_dual_mul_f32 v7, 0x3f575c64, v7 :: v_dual_add_f32 v38, v38, v41
	s_delay_alu instid0(VALU_DEP_3) | instskip(SKIP_3) | instid1(VALU_DEP_3)
	v_add_f32_e32 v39, v45, v40
	v_dual_mul_f32 v40, 0x3f7d64f0, v52 :: v_dual_add_f32 v45, v47, v49
	v_fmamk_f32 v47, v6, 0xbe903f40, v48
	v_fmac_f32_e32 v48, 0x3e903f40, v6
	v_fmamk_f32 v49, v54, 0xbe11bafb, v40
	v_fma_f32 v40, 0xbe11bafb, v54, -v40
	s_delay_alu instid0(VALU_DEP_3) | instskip(SKIP_1) | instid1(VALU_DEP_3)
	v_dual_add_f32 v41, v48, v42 :: v_dual_fmamk_f32 v48, v6, 0xbf7d64f0, v53
	v_fmac_f32_e32 v53, 0x3f7d64f0, v6
	v_add_f32_e32 v10, v40, v10
	s_delay_alu instid0(VALU_DEP_2)
	v_add_f32_e32 v40, v53, v44
	v_sub_f32_e32 v44, v13, v27
	v_dual_add_f32 v42, v49, v51 :: v_dual_mul_f32 v49, 0x3f0a6770, v52
	v_dual_add_f32 v47, v47, v50 :: v_dual_fmamk_f32 v50, v6, 0xbf0a6770, v7
	v_add_f32_e32 v13, v27, v13
	v_add_f32_e32 v11, v48, v11
	v_fmac_f32_e32 v7, 0x3f0a6770, v6
	v_sub_f32_e32 v6, v12, v26
	v_fmamk_f32 v48, v54, 0x3f575c64, v49
	v_mul_f32_e32 v27, 0xbf7d64f0, v44
	v_fma_f32 v49, 0x3f575c64, v54, -v49
	s_delay_alu instid0(VALU_DEP_3) | instskip(SKIP_1) | instid1(VALU_DEP_3)
	v_dual_add_f32 v36, v50, v36 :: v_dual_add_f32 v43, v48, v43
	v_add_f32_e32 v48, v26, v12
	v_add_f32_e32 v0, v49, v0
	s_delay_alu instid0(VALU_DEP_2) | instskip(SKIP_1) | instid1(VALU_DEP_2)
	v_fmamk_f32 v26, v48, 0xbe11bafb, v27
	v_mul_f32_e32 v12, 0xbe11bafb, v13
	v_add_f32_e32 v8, v26, v8
	s_delay_alu instid0(VALU_DEP_2) | instskip(SKIP_2) | instid1(VALU_DEP_2)
	v_fmamk_f32 v49, v6, 0x3f7d64f0, v12
	v_fmac_f32_e32 v12, 0xbf7d64f0, v6
	v_fma_f32 v26, 0xbe11bafb, v48, -v27
	v_add_f32_e32 v12, v12, v29
	s_delay_alu instid0(VALU_DEP_2) | instskip(SKIP_2) | instid1(VALU_DEP_2)
	v_dual_add_f32 v26, v26, v28 :: v_dual_add_f32 v1, v7, v1
	v_mul_f32_e32 v28, 0x3f68dda4, v44
	v_mul_f32_e32 v7, 0x3e903f40, v44
	v_fmamk_f32 v50, v48, 0x3ed4b147, v28
	s_delay_alu instid0(VALU_DEP_2) | instskip(SKIP_2) | instid1(VALU_DEP_3)
	v_fmamk_f32 v27, v48, 0xbf75a155, v7
	v_fma_f32 v7, 0xbf75a155, v48, -v7
	v_fma_f32 v28, 0x3ed4b147, v48, -v28
	v_dual_add_f32 v27, v27, v46 :: v_dual_mul_f32 v46, 0x3ed4b147, v13
	s_delay_alu instid0(VALU_DEP_2) | instskip(SKIP_2) | instid1(VALU_DEP_4)
	v_dual_add_f32 v7, v7, v37 :: v_dual_add_f32 v28, v28, v38
	v_add_f32_e32 v9, v49, v9
	v_mul_f32_e32 v49, 0xbf75a155, v13
	v_fmamk_f32 v37, v6, 0xbf68dda4, v46
	v_fmac_f32_e32 v46, 0x3f68dda4, v6
	s_delay_alu instid0(VALU_DEP_3) | instskip(SKIP_1) | instid1(VALU_DEP_4)
	v_fmamk_f32 v29, v6, 0xbe903f40, v49
	v_fmac_f32_e32 v49, 0x3e903f40, v6
	v_add_f32_e32 v37, v37, v47
	v_mul_f32_e32 v47, 0x3f575c64, v13
	s_delay_alu instid0(VALU_DEP_4)
	v_dual_add_f32 v38, v46, v41 :: v_dual_add_f32 v29, v29, v35
	v_mul_f32_e32 v41, 0xbf4178ce, v44
	v_add_f32_e32 v35, v49, v39
	v_add_f32_e32 v39, v50, v45
	v_mul_f32_e32 v45, 0xbf0a6770, v44
	v_fmamk_f32 v44, v6, 0x3f0a6770, v47
	v_fmamk_f32 v46, v48, 0xbf27a4f4, v41
	v_fma_f32 v41, 0xbf27a4f4, v48, -v41
	v_fmac_f32_e32 v47, 0xbf0a6770, v6
	v_fmamk_f32 v49, v48, 0x3f575c64, v45
	v_fma_f32 v45, 0x3f575c64, v48, -v45
	v_dual_add_f32 v11, v44, v11 :: v_dual_sub_f32 v44, v15, v25
	v_add_f32_e32 v15, v25, v15
	s_delay_alu instid0(VALU_DEP_3) | instskip(SKIP_1) | instid1(VALU_DEP_4)
	v_dual_mul_f32 v13, 0xbf27a4f4, v13 :: v_dual_add_f32 v10, v45, v10
	v_add_f32_e32 v43, v46, v43
	v_dual_add_f32 v25, v24, v14 :: v_dual_mul_f32 v46, 0xbf4178ce, v44
	s_delay_alu instid0(VALU_DEP_3)
	v_fmamk_f32 v45, v6, 0x3f4178ce, v13
	v_dual_fmac_f32 v13, 0xbf4178ce, v6 :: v_dual_sub_f32 v6, v14, v24
	v_mul_f32_e32 v14, 0xbf27a4f4, v15
	v_add_f32_e32 v0, v41, v0
	v_add_f32_e32 v42, v49, v42
	;; [unrolled: 1-line block ×3, first 2 shown]
	v_fmamk_f32 v36, v25, 0xbf27a4f4, v46
	v_add_f32_e32 v1, v13, v1
	v_fmamk_f32 v13, v6, 0x3f4178ce, v14
	v_mul_f32_e32 v41, 0x3f7d64f0, v44
	v_fmac_f32_e32 v14, 0xbf4178ce, v6
	v_add_f32_e32 v8, v36, v8
	v_add_f32_e32 v40, v47, v40
	v_fma_f32 v36, 0xbf27a4f4, v25, -v46
	s_delay_alu instid0(VALU_DEP_4)
	v_dual_add_f32 v9, v13, v9 :: v_dual_add_f32 v12, v14, v12
	v_mul_f32_e32 v45, 0xbe11bafb, v15
	v_mul_f32_e32 v14, 0xbf0a6770, v44
	;; [unrolled: 1-line block ×3, first 2 shown]
	v_dual_fmamk_f32 v13, v25, 0xbe11bafb, v41 :: v_dual_add_f32 v26, v36, v26
	v_fma_f32 v36, 0xbe11bafb, v25, -v41
	s_delay_alu instid0(VALU_DEP_4) | instskip(SKIP_1) | instid1(VALU_DEP_4)
	v_fmamk_f32 v41, v25, 0x3f575c64, v14
	v_fma_f32 v14, 0x3f575c64, v25, -v14
	v_add_f32_e32 v13, v13, v27
	v_fmamk_f32 v27, v6, 0xbf7d64f0, v45
	s_delay_alu instid0(VALU_DEP_1)
	v_dual_add_f32 v14, v14, v28 :: v_dual_add_f32 v27, v27, v29
	v_add_f32_e32 v29, v36, v7
	v_add_f32_e32 v36, v41, v39
	v_mul_f32_e32 v41, 0xbf75a155, v15
	v_mul_f32_e32 v39, 0xbe903f40, v44
	;; [unrolled: 1-line block ×3, first 2 shown]
	v_fmamk_f32 v7, v6, 0x3f0a6770, v46
	v_fmac_f32_e32 v46, 0xbf0a6770, v6
	v_fmamk_f32 v28, v6, 0x3e903f40, v41
	v_fmac_f32_e32 v41, 0xbe903f40, v6
	s_delay_alu instid0(VALU_DEP_4) | instskip(NEXT) | instid1(VALU_DEP_3)
	v_add_f32_e32 v37, v7, v37
	v_dual_fmamk_f32 v7, v25, 0xbf75a155, v39 :: v_dual_add_f32 v28, v28, v11
	v_fmamk_f32 v11, v25, 0x3ed4b147, v44
	s_delay_alu instid0(VALU_DEP_4) | instskip(SKIP_1) | instid1(VALU_DEP_4)
	v_add_f32_e32 v40, v41, v40
	v_add_f32_e32 v38, v46, v38
	;; [unrolled: 1-line block ×3, first 2 shown]
	v_fma_f32 v7, 0xbf75a155, v25, -v39
	v_add_f32_e32 v41, v11, v43
	v_fma_f32 v11, 0x3ed4b147, v25, -v44
	v_fmac_f32_e32 v45, 0x3f7d64f0, v6
	v_sub_f32_e32 v25, v16, v18
	v_add_f32_e32 v43, v18, v16
	s_delay_alu instid0(VALU_DEP_3) | instskip(SKIP_3) | instid1(VALU_DEP_3)
	v_dual_add_f32 v46, v11, v0 :: v_dual_add_f32 v35, v45, v35
	v_sub_f32_e32 v45, v17, v19
	v_add_f32_e32 v17, v19, v17
	v_mul_f32_e32 v15, 0x3ed4b147, v15
	v_dual_add_f32 v39, v7, v10 :: v_dual_mul_f32 v10, 0xbe903f40, v45
	v_mul_f32_e32 v11, 0x3f0a6770, v45
	s_delay_alu instid0(VALU_DEP_3) | instskip(SKIP_2) | instid1(VALU_DEP_3)
	v_fmamk_f32 v7, v6, 0xbf68dda4, v15
	v_mul_f32_e32 v16, 0xbf75a155, v17
	v_mul_f32_e32 v18, 0xbf27a4f4, v17
	v_add_f32_e32 v44, v7, v24
	v_mul_f32_e32 v24, 0x3ed4b147, v17
	v_fmac_f32_e32 v15, 0x3f68dda4, v6
	v_fmamk_f32 v6, v43, 0xbf75a155, v10
	v_fmamk_f32 v0, v25, 0x3e903f40, v16
	v_fmac_f32_e32 v16, 0xbe903f40, v25
	s_delay_alu instid0(VALU_DEP_3) | instskip(SKIP_2) | instid1(VALU_DEP_2)
	v_dual_add_f32 v47, v15, v1 :: v_dual_add_f32 v6, v6, v8
	v_dual_fmamk_f32 v8, v43, 0x3f575c64, v11 :: v_dual_mul_f32 v15, 0x3f575c64, v17
	v_mul_f32_e32 v19, 0x3f68dda4, v45
	v_dual_add_f32 v8, v8, v13 :: v_dual_fmamk_f32 v13, v25, 0x3f4178ce, v18
	v_fmac_f32_e32 v18, 0xbf4178ce, v25
	v_fma_f32 v1, 0xbf75a155, v43, -v10
	v_add_f32_e32 v7, v0, v9
	v_fma_f32 v10, 0x3f575c64, v43, -v11
	s_delay_alu instid0(VALU_DEP_3) | instskip(SKIP_2) | instid1(VALU_DEP_4)
	v_dual_add_f32 v0, v1, v26 :: v_dual_add_f32 v1, v16, v12
	v_mul_f32_e32 v26, 0xbf7d64f0, v45
	v_mul_f32_e32 v16, 0xbf4178ce, v45
	v_add_f32_e32 v10, v10, v29
	s_delay_alu instid0(VALU_DEP_2) | instskip(SKIP_1) | instid1(VALU_DEP_2)
	v_fmamk_f32 v12, v43, 0xbf27a4f4, v16
	v_fmamk_f32 v9, v25, 0xbf0a6770, v15
	v_dual_fmac_f32 v15, 0x3f0a6770, v25 :: v_dual_add_f32 v12, v12, v36
	v_add_f32_e32 v13, v13, v37
	s_delay_alu instid0(VALU_DEP_2) | instskip(SKIP_4) | instid1(VALU_DEP_4)
	v_add_f32_e32 v11, v15, v35
	v_fma_f32 v15, 0xbf27a4f4, v43, -v16
	v_fmamk_f32 v16, v43, 0x3ed4b147, v19
	v_fma_f32 v19, 0x3ed4b147, v43, -v19
	v_mad_u32_u24 v35, 0x50, v31, v2
	v_dual_add_f32 v9, v9, v27 :: v_dual_add_f32 v14, v15, v14
	v_add_f32_e32 v15, v18, v38
	v_add_f32_e32 v16, v16, v42
	s_delay_alu instid0(VALU_DEP_4) | instskip(SKIP_3) | instid1(VALU_DEP_3)
	v_add_nc_u32_e32 v2, v35, v21
	v_fmamk_f32 v18, v25, 0xbf68dda4, v24
	v_fmac_f32_e32 v24, 0x3f68dda4, v25
	v_mul_f32_e32 v27, 0xbe11bafb, v17
	v_dual_add_f32 v17, v18, v28 :: v_dual_add_f32 v18, v19, v39
	s_delay_alu instid0(VALU_DEP_3) | instskip(NEXT) | instid1(VALU_DEP_3)
	v_dual_add_f32 v19, v24, v40 :: v_dual_fmamk_f32 v24, v43, 0xbe11bafb, v26
	v_fmamk_f32 v28, v25, 0x3f7d64f0, v27
	v_fma_f32 v26, 0xbe11bafb, v43, -v26
	v_fmac_f32_e32 v27, 0xbf7d64f0, v25
	s_delay_alu instid0(VALU_DEP_4) | instskip(NEXT) | instid1(VALU_DEP_3)
	v_add_f32_e32 v24, v24, v41
	v_dual_add_f32 v25, v28, v44 :: v_dual_add_f32 v26, v26, v46
	s_delay_alu instid0(VALU_DEP_3)
	v_add_f32_e32 v27, v27, v47
	ds_store_2addr_b64 v2, v[4:5], v[6:7] offset1:1
	ds_store_2addr_b64 v2, v[8:9], v[12:13] offset0:2 offset1:3
	ds_store_2addr_b64 v2, v[16:17], v[24:25] offset0:4 offset1:5
	;; [unrolled: 1-line block ×4, first 2 shown]
	ds_store_b64 v2, v[0:1] offset:80
	global_wb scope:SCOPE_SE
	s_wait_dscnt 0x0
	s_barrier_signal -1
	s_barrier_wait -1
	global_inv scope:SCOPE_SE
	ds_load_2addr_b64 v[12:15], v34 offset0:11 offset1:13
	ds_load_2addr_b64 v[8:11], v34 offset0:2 offset1:4
	;; [unrolled: 1-line block ×4, first 2 shown]
	ds_load_b64 v[26:27], v3
	ds_load_b64 v[28:29], v34 offset:152
	v_mov_b32_e32 v24, 0
	v_mov_b32_e32 v25, 0
	s_and_saveexec_b32 s1, s0
	s_cbranch_execz .LBB0_21
; %bb.20:
	ds_load_2addr_b64 v[0:3], v30 offset0:10 offset1:21
	v_mov_b32_e32 v24, 10
	v_mov_b32_e32 v25, 0
.LBB0_21:
	s_wait_alu 0xfffe
	s_or_b32 exec_lo, exec_lo, s1
	s_clause 0x4
	global_load_b64 v[36:37], v33, s[4:5]
	global_load_b64 v[38:39], v32, s[4:5] offset:16
	global_load_b64 v[40:41], v32, s[4:5] offset:32
	;; [unrolled: 1-line block ×4, first 2 shown]
	v_mul_i32_i24_e32 v25, 0xffffffb0, v31
	global_wb scope:SCOPE_SE
	s_wait_loadcnt_dscnt 0x0
	s_barrier_signal -1
	s_barrier_wait -1
	global_inv scope:SCOPE_SE
	v_add3_u32 v21, v35, v25, v21
	v_dual_mul_f32 v25, v37, v13 :: v_dual_mul_f32 v44, v43, v19
	v_mul_f32_e32 v31, v37, v12
	s_delay_alu instid0(VALU_DEP_2) | instskip(SKIP_3) | instid1(VALU_DEP_4)
	v_fmac_f32_e32 v25, v36, v12
	v_mul_f32_e32 v35, v39, v15
	v_mul_f32_e32 v43, v43, v18
	v_dual_mul_f32 v45, v33, v29 :: v_dual_fmac_f32 v44, v42, v18
	v_sub_f32_e32 v12, v26, v25
	s_delay_alu instid0(VALU_DEP_4) | instskip(SKIP_3) | instid1(VALU_DEP_4)
	v_fmac_f32_e32 v35, v38, v14
	v_mul_f32_e32 v37, v39, v14
	v_mul_f32_e32 v39, v41, v17
	;; [unrolled: 1-line block ×3, first 2 shown]
	v_dual_mul_f32 v33, v33, v28 :: v_dual_sub_f32 v18, v8, v35
	s_delay_alu instid0(VALU_DEP_4) | instskip(SKIP_1) | instid1(VALU_DEP_4)
	v_fma_f32 v14, v38, v15, -v37
	v_fma_f32 v13, v36, v13, -v31
	;; [unrolled: 1-line block ×3, first 2 shown]
	v_fmac_f32_e32 v45, v32, v28
	v_fma_f32 v17, v32, v29, -v33
	v_sub_f32_e32 v29, v4, v44
	v_sub_f32_e32 v13, v27, v13
	v_dual_sub_f32 v28, v11, v15 :: v_dual_fmac_f32 v39, v40, v16
	v_fma_f32 v16, v42, v19, -v43
	v_sub_f32_e32 v19, v9, v14
	v_sub_f32_e32 v31, v6, v45
	;; [unrolled: 1-line block ×3, first 2 shown]
	s_delay_alu instid0(VALU_DEP_4)
	v_dual_sub_f32 v25, v10, v39 :: v_dual_sub_f32 v16, v5, v16
	v_fma_f32 v14, v26, 2.0, -v12
	v_fma_f32 v15, v27, 2.0, -v13
	v_fma_f32 v8, v8, 2.0, -v18
	v_fma_f32 v9, v9, 2.0, -v19
	v_fma_f32 v10, v10, 2.0, -v25
	v_fma_f32 v11, v11, 2.0, -v28
	v_fma_f32 v4, v4, 2.0, -v29
	v_fma_f32 v5, v5, 2.0, -v16
	v_fma_f32 v6, v6, 2.0, -v31
	v_fma_f32 v7, v7, 2.0, -v17
	ds_store_b64 v34, v[12:13] offset:88
	ds_store_2addr_b64 v34, v[14:15], v[8:9] offset1:2
	ds_store_2addr_b32 v21, v18, v19 offset0:26 offset1:27
	ds_store_b64 v34, v[10:11] offset:32
	ds_store_2addr_b32 v21, v25, v28 offset0:30 offset1:31
	ds_store_b64 v34, v[4:5] offset:48
	;; [unrolled: 2-line block ×3, first 2 shown]
	ds_store_2addr_b32 v21, v31, v17 offset0:38 offset1:39
	s_and_saveexec_b32 s1, s0
	s_cbranch_execz .LBB0_23
; %bb.22:
	v_lshlrev_b32_e32 v4, 3, v24
	global_load_b64 v[4:5], v4, s[4:5]
	s_wait_loadcnt 0x0
	v_mul_f32_e32 v6, v2, v5
	v_mul_f32_e32 v5, v3, v5
	s_delay_alu instid0(VALU_DEP_2) | instskip(NEXT) | instid1(VALU_DEP_2)
	v_fma_f32 v3, v3, v4, -v6
	v_fmac_f32_e32 v5, v2, v4
	s_delay_alu instid0(VALU_DEP_1) | instskip(NEXT) | instid1(VALU_DEP_1)
	v_dual_sub_f32 v3, v1, v3 :: v_dual_sub_f32 v2, v0, v5
	v_fma_f32 v1, v1, 2.0, -v3
	s_delay_alu instid0(VALU_DEP_2)
	v_fma_f32 v0, v0, 2.0, -v2
	ds_store_2addr_b64 v30, v[0:1], v[2:3] offset0:10 offset1:21
.LBB0_23:
	s_wait_alu 0xfffe
	s_or_b32 exec_lo, exec_lo, s1
	global_wb scope:SCOPE_SE
	s_wait_dscnt 0x0
	s_barrier_signal -1
	s_barrier_wait -1
	global_inv scope:SCOPE_SE
	s_and_saveexec_b32 s0, vcc_lo
	s_cbranch_execz .LBB0_25
; %bb.24:
	v_dual_mov_b32 v21, 0 :: v_dual_add_nc_u32 v4, 2, v20
	v_add_co_u32 v28, vcc_lo, s8, v22
	v_lshl_add_u32 v26, v20, 3, v30
	s_delay_alu instid0(VALU_DEP_3) | instskip(SKIP_4) | instid1(VALU_DEP_4)
	v_lshlrev_b64_e32 v[0:1], 3, v[20:21]
	s_wait_alu 0xfffd
	v_add_co_ci_u32_e32 v29, vcc_lo, s9, v23, vcc_lo
	v_dual_mov_b32 v5, v21 :: v_dual_add_nc_u32 v8, 4, v20
	v_dual_mov_b32 v9, v21 :: v_dual_add_nc_u32 v14, 6, v20
	v_add_co_u32 v10, vcc_lo, v28, v0
	s_wait_alu 0xfffd
	v_add_co_ci_u32_e32 v11, vcc_lo, v29, v1, vcc_lo
	ds_load_2addr_b64 v[0:3], v26 offset1:2
	v_lshlrev_b64_e32 v[12:13], 3, v[4:5]
	ds_load_2addr_b64 v[4:7], v26 offset0:4 offset1:6
	v_dual_mov_b32 v15, v21 :: v_dual_add_nc_u32 v16, 8, v20
	v_lshlrev_b64_e32 v[8:9], 3, v[8:9]
	v_dual_mov_b32 v17, v21 :: v_dual_add_nc_u32 v18, 10, v20
	v_add_co_u32 v12, vcc_lo, v28, v12
	s_delay_alu instid0(VALU_DEP_4)
	v_lshlrev_b64_e32 v[14:15], 3, v[14:15]
	s_wait_alu 0xfffd
	v_add_co_ci_u32_e32 v13, vcc_lo, v29, v13, vcc_lo
	v_add_co_u32 v8, vcc_lo, v28, v8
	s_wait_alu 0xfffd
	v_add_co_ci_u32_e32 v9, vcc_lo, v29, v9, vcc_lo
	v_add_co_u32 v14, vcc_lo, v28, v14
	s_wait_alu 0xfffd
	v_add_co_ci_u32_e32 v15, vcc_lo, v29, v15, vcc_lo
	v_mov_b32_e32 v19, v21
	s_wait_dscnt 0x1
	s_clause 0x1
	global_store_b64 v[10:11], v[0:1], off
	global_store_b64 v[12:13], v[2:3], off
	s_wait_dscnt 0x0
	s_clause 0x1
	global_store_b64 v[8:9], v[4:5], off
	global_store_b64 v[14:15], v[6:7], off
	v_add_nc_u32_e32 v8, 12, v20
	v_lshlrev_b64_e32 v[4:5], 3, v[16:17]
	v_dual_mov_b32 v9, v21 :: v_dual_add_nc_u32 v10, 14, v20
	v_lshlrev_b64_e32 v[6:7], 3, v[18:19]
	v_mov_b32_e32 v11, v21
	ds_load_2addr_b64 v[0:3], v26 offset0:8 offset1:10
	v_add_co_u32 v12, vcc_lo, v28, v4
	v_lshlrev_b64_e32 v[8:9], 3, v[8:9]
	s_wait_alu 0xfffd
	v_add_co_ci_u32_e32 v13, vcc_lo, v29, v5, vcc_lo
	v_add_co_u32 v14, vcc_lo, v28, v6
	s_wait_alu 0xfffd
	v_add_co_ci_u32_e32 v15, vcc_lo, v29, v7, vcc_lo
	v_add_co_u32 v16, vcc_lo, v28, v8
	s_wait_alu 0xfffd
	v_add_co_ci_u32_e32 v17, vcc_lo, v29, v9, vcc_lo
	v_lshlrev_b64_e32 v[8:9], 3, v[10:11]
	v_add_nc_u32_e32 v10, 16, v20
	ds_load_2addr_b64 v[4:7], v26 offset0:12 offset1:14
	v_add_nc_u32_e32 v18, 18, v20
	v_add_nc_u32_e32 v20, 20, v20
	v_add_co_u32 v22, vcc_lo, v28, v8
	s_wait_alu 0xfffd
	v_add_co_ci_u32_e32 v23, vcc_lo, v29, v9, vcc_lo
	v_lshlrev_b64_e32 v[24:25], 3, v[10:11]
	ds_load_2addr_b64 v[8:11], v26 offset0:16 offset1:18
	ds_load_b64 v[26:27], v26 offset:160
	v_lshlrev_b64_e32 v[18:19], 3, v[18:19]
	v_lshlrev_b64_e32 v[20:21], 3, v[20:21]
	v_add_co_u32 v24, vcc_lo, v28, v24
	s_wait_alu 0xfffd
	v_add_co_ci_u32_e32 v25, vcc_lo, v29, v25, vcc_lo
	s_delay_alu instid0(VALU_DEP_4)
	v_add_co_u32 v18, vcc_lo, v28, v18
	s_wait_alu 0xfffd
	v_add_co_ci_u32_e32 v19, vcc_lo, v29, v19, vcc_lo
	v_add_co_u32 v20, vcc_lo, v28, v20
	s_wait_alu 0xfffd
	v_add_co_ci_u32_e32 v21, vcc_lo, v29, v21, vcc_lo
	s_wait_dscnt 0x3
	s_clause 0x1
	global_store_b64 v[12:13], v[0:1], off
	global_store_b64 v[14:15], v[2:3], off
	s_wait_dscnt 0x2
	s_clause 0x1
	global_store_b64 v[16:17], v[4:5], off
	global_store_b64 v[22:23], v[6:7], off
	;; [unrolled: 4-line block ×3, first 2 shown]
	s_wait_dscnt 0x0
	global_store_b64 v[20:21], v[26:27], off
.LBB0_25:
	s_nop 0
	s_sendmsg sendmsg(MSG_DEALLOC_VGPRS)
	s_endpgm
	.section	.rodata,"a",@progbits
	.p2align	6, 0x0
	.amdhsa_kernel fft_rtc_back_len22_factors_11_2_wgs_64_tpt_2_halfLds_sp_ip_CI_unitstride_sbrr_C2R_dirReg
		.amdhsa_group_segment_fixed_size 0
		.amdhsa_private_segment_fixed_size 0
		.amdhsa_kernarg_size 88
		.amdhsa_user_sgpr_count 2
		.amdhsa_user_sgpr_dispatch_ptr 0
		.amdhsa_user_sgpr_queue_ptr 0
		.amdhsa_user_sgpr_kernarg_segment_ptr 1
		.amdhsa_user_sgpr_dispatch_id 0
		.amdhsa_user_sgpr_private_segment_size 0
		.amdhsa_wavefront_size32 1
		.amdhsa_uses_dynamic_stack 0
		.amdhsa_enable_private_segment 0
		.amdhsa_system_sgpr_workgroup_id_x 1
		.amdhsa_system_sgpr_workgroup_id_y 0
		.amdhsa_system_sgpr_workgroup_id_z 0
		.amdhsa_system_sgpr_workgroup_info 0
		.amdhsa_system_vgpr_workitem_id 0
		.amdhsa_next_free_vgpr 56
		.amdhsa_next_free_sgpr 32
		.amdhsa_reserve_vcc 1
		.amdhsa_float_round_mode_32 0
		.amdhsa_float_round_mode_16_64 0
		.amdhsa_float_denorm_mode_32 3
		.amdhsa_float_denorm_mode_16_64 3
		.amdhsa_fp16_overflow 0
		.amdhsa_workgroup_processor_mode 1
		.amdhsa_memory_ordered 1
		.amdhsa_forward_progress 0
		.amdhsa_round_robin_scheduling 0
		.amdhsa_exception_fp_ieee_invalid_op 0
		.amdhsa_exception_fp_denorm_src 0
		.amdhsa_exception_fp_ieee_div_zero 0
		.amdhsa_exception_fp_ieee_overflow 0
		.amdhsa_exception_fp_ieee_underflow 0
		.amdhsa_exception_fp_ieee_inexact 0
		.amdhsa_exception_int_div_zero 0
	.end_amdhsa_kernel
	.text
.Lfunc_end0:
	.size	fft_rtc_back_len22_factors_11_2_wgs_64_tpt_2_halfLds_sp_ip_CI_unitstride_sbrr_C2R_dirReg, .Lfunc_end0-fft_rtc_back_len22_factors_11_2_wgs_64_tpt_2_halfLds_sp_ip_CI_unitstride_sbrr_C2R_dirReg
                                        ; -- End function
	.section	.AMDGPU.csdata,"",@progbits
; Kernel info:
; codeLenInByte = 6076
; NumSgprs: 34
; NumVgprs: 56
; ScratchSize: 0
; MemoryBound: 0
; FloatMode: 240
; IeeeMode: 1
; LDSByteSize: 0 bytes/workgroup (compile time only)
; SGPRBlocks: 4
; VGPRBlocks: 6
; NumSGPRsForWavesPerEU: 34
; NumVGPRsForWavesPerEU: 56
; Occupancy: 16
; WaveLimiterHint : 1
; COMPUTE_PGM_RSRC2:SCRATCH_EN: 0
; COMPUTE_PGM_RSRC2:USER_SGPR: 2
; COMPUTE_PGM_RSRC2:TRAP_HANDLER: 0
; COMPUTE_PGM_RSRC2:TGID_X_EN: 1
; COMPUTE_PGM_RSRC2:TGID_Y_EN: 0
; COMPUTE_PGM_RSRC2:TGID_Z_EN: 0
; COMPUTE_PGM_RSRC2:TIDIG_COMP_CNT: 0
	.text
	.p2alignl 7, 3214868480
	.fill 96, 4, 3214868480
	.type	__hip_cuid_32f6d2502395c39b,@object ; @__hip_cuid_32f6d2502395c39b
	.section	.bss,"aw",@nobits
	.globl	__hip_cuid_32f6d2502395c39b
__hip_cuid_32f6d2502395c39b:
	.byte	0                               ; 0x0
	.size	__hip_cuid_32f6d2502395c39b, 1

	.ident	"AMD clang version 19.0.0git (https://github.com/RadeonOpenCompute/llvm-project roc-6.4.0 25133 c7fe45cf4b819c5991fe208aaa96edf142730f1d)"
	.section	".note.GNU-stack","",@progbits
	.addrsig
	.addrsig_sym __hip_cuid_32f6d2502395c39b
	.amdgpu_metadata
---
amdhsa.kernels:
  - .args:
      - .actual_access:  read_only
        .address_space:  global
        .offset:         0
        .size:           8
        .value_kind:     global_buffer
      - .offset:         8
        .size:           8
        .value_kind:     by_value
      - .actual_access:  read_only
        .address_space:  global
        .offset:         16
        .size:           8
        .value_kind:     global_buffer
      - .actual_access:  read_only
        .address_space:  global
        .offset:         24
        .size:           8
        .value_kind:     global_buffer
      - .offset:         32
        .size:           8
        .value_kind:     by_value
      - .actual_access:  read_only
        .address_space:  global
        .offset:         40
        .size:           8
        .value_kind:     global_buffer
      - .actual_access:  read_only
        .address_space:  global
        .offset:         48
        .size:           8
        .value_kind:     global_buffer
      - .offset:         56
        .size:           4
        .value_kind:     by_value
      - .actual_access:  read_only
        .address_space:  global
        .offset:         64
        .size:           8
        .value_kind:     global_buffer
      - .actual_access:  read_only
        .address_space:  global
        .offset:         72
        .size:           8
        .value_kind:     global_buffer
      - .address_space:  global
        .offset:         80
        .size:           8
        .value_kind:     global_buffer
    .group_segment_fixed_size: 0
    .kernarg_segment_align: 8
    .kernarg_segment_size: 88
    .language:       OpenCL C
    .language_version:
      - 2
      - 0
    .max_flat_workgroup_size: 64
    .name:           fft_rtc_back_len22_factors_11_2_wgs_64_tpt_2_halfLds_sp_ip_CI_unitstride_sbrr_C2R_dirReg
    .private_segment_fixed_size: 0
    .sgpr_count:     34
    .sgpr_spill_count: 0
    .symbol:         fft_rtc_back_len22_factors_11_2_wgs_64_tpt_2_halfLds_sp_ip_CI_unitstride_sbrr_C2R_dirReg.kd
    .uniform_work_group_size: 1
    .uses_dynamic_stack: false
    .vgpr_count:     56
    .vgpr_spill_count: 0
    .wavefront_size: 32
    .workgroup_processor_mode: 1
amdhsa.target:   amdgcn-amd-amdhsa--gfx1201
amdhsa.version:
  - 1
  - 2
...

	.end_amdgpu_metadata
